;; amdgpu-corpus repo=ROCm/rocFFT kind=compiled arch=gfx906 opt=O3
	.text
	.amdgcn_target "amdgcn-amd-amdhsa--gfx906"
	.amdhsa_code_object_version 6
	.protected	fft_rtc_back_len121_factors_11_11_wgs_121_tpt_11_dp_ip_CI_sbcc_twdbase5_3step_dirReg_intrinsicReadWrite ; -- Begin function fft_rtc_back_len121_factors_11_11_wgs_121_tpt_11_dp_ip_CI_sbcc_twdbase5_3step_dirReg_intrinsicReadWrite
	.globl	fft_rtc_back_len121_factors_11_11_wgs_121_tpt_11_dp_ip_CI_sbcc_twdbase5_3step_dirReg_intrinsicReadWrite
	.p2align	8
	.type	fft_rtc_back_len121_factors_11_11_wgs_121_tpt_11_dp_ip_CI_sbcc_twdbase5_3step_dirReg_intrinsicReadWrite,@function
fft_rtc_back_len121_factors_11_11_wgs_121_tpt_11_dp_ip_CI_sbcc_twdbase5_3step_dirReg_intrinsicReadWrite: ; @fft_rtc_back_len121_factors_11_11_wgs_121_tpt_11_dp_ip_CI_sbcc_twdbase5_3step_dirReg_intrinsicReadWrite
; %bb.0:
	s_load_dwordx8 s[8:15], s[4:5], 0x8
	s_movk_i32 s0, 0x60
	v_cmp_gt_u32_e32 vcc, s0, v0
	s_and_saveexec_b64 s[0:1], vcc
	s_cbranch_execz .LBB0_2
; %bb.1:
	v_lshlrev_b32_e32 v5, 4, v0
	s_waitcnt lgkmcnt(0)
	global_load_dwordx4 v[1:4], v5, s[8:9]
	v_add_u32_e32 v5, 0, v5
	v_add_u32_e32 v5, 0x5330, v5
	s_waitcnt vmcnt(0)
	ds_write2_b64 v5, v[1:2], v[3:4] offset1:1
.LBB0_2:
	s_or_b64 exec, exec, s[0:1]
	s_waitcnt lgkmcnt(0)
	s_load_dwordx2 s[2:3], s[12:13], 0x8
	s_mov_b32 s7, 0
	s_mov_b64 s[24:25], 0
	s_waitcnt lgkmcnt(0)
	s_add_u32 s0, s2, -1
	s_addc_u32 s1, s3, -1
	s_add_u32 s8, 0, 0x5d161400
	s_addc_u32 s9, 0, 0x54
	s_mul_hi_u32 s17, s8, -11
	s_add_i32 s9, s9, 0x1745d120
	s_sub_i32 s17, s17, s8
	s_mul_i32 s20, s9, -11
	s_mul_i32 s16, s8, -11
	s_add_i32 s17, s17, s20
	s_mul_hi_u32 s18, s9, s16
	s_mul_i32 s19, s9, s16
	s_mul_i32 s21, s8, s17
	s_mul_hi_u32 s16, s8, s16
	s_mul_hi_u32 s20, s8, s17
	s_add_u32 s16, s16, s21
	s_addc_u32 s20, 0, s20
	s_add_u32 s16, s16, s19
	s_mul_hi_u32 s21, s9, s17
	s_addc_u32 s16, s20, s18
	s_addc_u32 s18, s21, 0
	s_mul_i32 s17, s9, s17
	s_add_u32 s16, s16, s17
	v_mov_b32_e32 v1, s16
	s_addc_u32 s17, 0, s18
	v_add_co_u32_e32 v1, vcc, s8, v1
	s_cmp_lg_u64 vcc, 0
	s_addc_u32 s8, s9, s17
	v_readfirstlane_b32 s17, v1
	s_mul_i32 s16, s0, s8
	s_mul_hi_u32 s18, s0, s17
	s_mul_hi_u32 s9, s0, s8
	s_add_u32 s16, s18, s16
	s_addc_u32 s9, 0, s9
	s_mul_hi_u32 s19, s1, s17
	s_mul_i32 s17, s1, s17
	s_add_u32 s16, s16, s17
	s_mul_hi_u32 s18, s1, s8
	s_addc_u32 s9, s9, s19
	s_addc_u32 s16, s18, 0
	s_mul_i32 s8, s1, s8
	s_add_u32 s8, s9, s8
	s_addc_u32 s9, 0, s16
	s_add_u32 s16, s8, 1
	s_addc_u32 s17, s9, 0
	s_add_u32 s18, s8, 2
	s_mul_i32 s20, s9, 11
	s_mul_hi_u32 s21, s8, 11
	s_addc_u32 s19, s9, 0
	s_add_i32 s21, s21, s20
	s_mul_i32 s20, s8, 11
	v_mov_b32_e32 v1, s20
	v_sub_co_u32_e32 v1, vcc, s0, v1
	s_cmp_lg_u64 vcc, 0
	s_subb_u32 s0, s1, s21
	v_subrev_co_u32_e32 v2, vcc, 11, v1
	s_cmp_lg_u64 vcc, 0
	s_subb_u32 s1, s0, 0
	v_readfirstlane_b32 s20, v2
	s_cmp_gt_u32 s20, 10
	s_cselect_b32 s20, -1, 0
	s_cmp_eq_u32 s1, 0
	s_cselect_b32 s1, s20, -1
	s_cmp_lg_u32 s1, 0
	s_cselect_b32 s1, s18, s16
	s_cselect_b32 s16, s19, s17
	v_readfirstlane_b32 s17, v1
	s_cmp_gt_u32 s17, 10
	s_cselect_b32 s17, -1, 0
	s_cmp_eq_u32 s0, 0
	s_cselect_b32 s0, s17, -1
	s_cmp_lg_u32 s0, 0
	s_cselect_b32 s1, s1, s8
	s_cselect_b32 s0, s16, s9
	s_add_u32 s22, s1, 1
	s_addc_u32 s23, s0, 0
	v_mov_b32_e32 v1, s22
	v_mov_b32_e32 v2, s23
	v_cmp_lt_u64_e32 vcc, s[6:7], v[1:2]
	s_cbranch_vccnz .LBB0_4
; %bb.3:
	v_cvt_f32_u32_e32 v1, s22
	s_sub_i32 s0, 0, s22
	s_mov_b32 s25, s7
	v_rcp_iflag_f32_e32 v1, v1
	v_mul_f32_e32 v1, 0x4f7ffffe, v1
	v_cvt_u32_f32_e32 v1, v1
	v_readfirstlane_b32 s1, v1
	s_mul_i32 s0, s0, s1
	s_mul_hi_u32 s0, s1, s0
	s_add_i32 s1, s1, s0
	s_mul_hi_u32 s0, s6, s1
	s_mul_i32 s8, s0, s22
	s_sub_i32 s8, s6, s8
	s_add_i32 s1, s0, 1
	s_sub_i32 s9, s8, s22
	s_cmp_ge_u32 s8, s22
	s_cselect_b32 s0, s1, s0
	s_cselect_b32 s8, s9, s8
	s_add_i32 s1, s0, 1
	s_cmp_ge_u32 s8, s22
	s_cselect_b32 s24, s1, s0
.LBB0_4:
	s_mul_i32 s0, s24, s23
	s_mul_hi_u32 s1, s24, s22
	s_load_dwordx2 s[8:9], s[4:5], 0x58
	s_load_dwordx2 s[20:21], s[4:5], 0x0
	s_load_dwordx4 s[16:19], s[14:15], 0x0
	s_add_i32 s1, s1, s0
	s_mul_i32 s0, s24, s22
	s_sub_u32 s36, s6, s0
	s_subb_u32 s0, 0, s1
	s_mul_i32 s0, s0, 11
	s_waitcnt lgkmcnt(0)
	s_mul_hi_u32 s17, s36, 11
	s_add_i32 s17, s17, s0
	s_mul_i32 s36, s36, 11
	s_mul_i32 s0, s18, s17
	s_mul_hi_u32 s1, s18, s36
	s_add_i32 s0, s1, s0
	s_mul_i32 s1, s19, s36
	s_add_i32 s33, s0, s1
	v_cmp_lt_u64_e64 s[0:1], s[10:11], 3
	s_mul_i32 s19, s18, s36
	s_and_b64 vcc, exec, s[0:1]
	s_cbranch_vccnz .LBB0_12
; %bb.5:
	s_add_u32 s4, s14, 16
	s_addc_u32 s5, s15, 0
	s_add_u32 s12, s12, 16
	v_mov_b32_e32 v1, s10
	s_addc_u32 s13, s13, 0
	s_mov_b64 s[26:27], 2
	s_mov_b32 s28, 0
	v_mov_b32_e32 v2, s11
.LBB0_6:                                ; =>This Inner Loop Header: Depth=1
	s_load_dwordx2 s[30:31], s[12:13], 0x0
	s_waitcnt lgkmcnt(0)
	s_or_b64 s[0:1], s[24:25], s[30:31]
	s_mov_b32 s29, s1
	s_cmp_lg_u64 s[28:29], 0
	s_cbranch_scc0 .LBB0_11
; %bb.7:                                ;   in Loop: Header=BB0_6 Depth=1
	v_cvt_f32_u32_e32 v3, s30
	v_cvt_f32_u32_e32 v4, s31
	s_sub_u32 s0, 0, s30
	s_subb_u32 s1, 0, s31
	v_mac_f32_e32 v3, 0x4f800000, v4
	v_rcp_f32_e32 v3, v3
	v_mul_f32_e32 v3, 0x5f7ffffc, v3
	v_mul_f32_e32 v4, 0x2f800000, v3
	v_trunc_f32_e32 v4, v4
	v_mac_f32_e32 v3, 0xcf800000, v4
	v_cvt_u32_f32_e32 v4, v4
	v_cvt_u32_f32_e32 v3, v3
	v_readfirstlane_b32 s29, v4
	v_readfirstlane_b32 s34, v3
	s_mul_i32 s35, s0, s29
	s_mul_hi_u32 s38, s0, s34
	s_mul_i32 s37, s1, s34
	s_add_i32 s35, s38, s35
	s_mul_i32 s39, s0, s34
	s_add_i32 s35, s35, s37
	s_mul_hi_u32 s37, s34, s35
	s_mul_i32 s38, s34, s35
	s_mul_hi_u32 s34, s34, s39
	s_add_u32 s34, s34, s38
	s_addc_u32 s37, 0, s37
	s_mul_hi_u32 s40, s29, s39
	s_mul_i32 s39, s29, s39
	s_add_u32 s34, s34, s39
	s_mul_hi_u32 s38, s29, s35
	s_addc_u32 s34, s37, s40
	s_addc_u32 s37, s38, 0
	s_mul_i32 s35, s29, s35
	s_add_u32 s34, s34, s35
	s_addc_u32 s35, 0, s37
	v_add_co_u32_e32 v3, vcc, s34, v3
	s_cmp_lg_u64 vcc, 0
	s_addc_u32 s29, s29, s35
	v_readfirstlane_b32 s35, v3
	s_mul_i32 s34, s0, s29
	s_mul_hi_u32 s37, s0, s35
	s_add_i32 s34, s37, s34
	s_mul_i32 s1, s1, s35
	s_add_i32 s34, s34, s1
	s_mul_i32 s0, s0, s35
	s_mul_hi_u32 s37, s29, s0
	s_mul_i32 s38, s29, s0
	s_mul_i32 s40, s35, s34
	s_mul_hi_u32 s0, s35, s0
	s_mul_hi_u32 s39, s35, s34
	s_add_u32 s0, s0, s40
	s_addc_u32 s35, 0, s39
	s_add_u32 s0, s0, s38
	s_mul_hi_u32 s1, s29, s34
	s_addc_u32 s0, s35, s37
	s_addc_u32 s1, s1, 0
	s_mul_i32 s34, s29, s34
	s_add_u32 s0, s0, s34
	s_addc_u32 s1, 0, s1
	v_add_co_u32_e32 v3, vcc, s0, v3
	s_cmp_lg_u64 vcc, 0
	s_addc_u32 s0, s29, s1
	v_readfirstlane_b32 s34, v3
	s_mul_i32 s29, s24, s0
	s_mul_hi_u32 s35, s24, s34
	s_mul_hi_u32 s1, s24, s0
	s_add_u32 s29, s35, s29
	s_addc_u32 s1, 0, s1
	s_mul_hi_u32 s37, s25, s34
	s_mul_i32 s34, s25, s34
	s_add_u32 s29, s29, s34
	s_mul_hi_u32 s35, s25, s0
	s_addc_u32 s1, s1, s37
	s_addc_u32 s29, s35, 0
	s_mul_i32 s0, s25, s0
	s_add_u32 s34, s1, s0
	s_addc_u32 s29, 0, s29
	s_mul_i32 s0, s30, s29
	s_mul_hi_u32 s1, s30, s34
	s_add_i32 s0, s1, s0
	s_mul_i32 s1, s31, s34
	s_add_i32 s35, s0, s1
	s_mul_i32 s1, s30, s34
	v_mov_b32_e32 v3, s1
	s_sub_i32 s0, s25, s35
	v_sub_co_u32_e32 v3, vcc, s24, v3
	s_cmp_lg_u64 vcc, 0
	s_subb_u32 s37, s0, s31
	v_subrev_co_u32_e64 v4, s[0:1], s30, v3
	s_cmp_lg_u64 s[0:1], 0
	s_subb_u32 s0, s37, 0
	s_cmp_ge_u32 s0, s31
	v_readfirstlane_b32 s37, v4
	s_cselect_b32 s1, -1, 0
	s_cmp_ge_u32 s37, s30
	s_cselect_b32 s37, -1, 0
	s_cmp_eq_u32 s0, s31
	s_cselect_b32 s0, s37, s1
	s_add_u32 s1, s34, 1
	s_addc_u32 s37, s29, 0
	s_add_u32 s38, s34, 2
	s_addc_u32 s39, s29, 0
	s_cmp_lg_u32 s0, 0
	s_cselect_b32 s0, s38, s1
	s_cselect_b32 s1, s39, s37
	s_cmp_lg_u64 vcc, 0
	s_subb_u32 s35, s25, s35
	s_cmp_ge_u32 s35, s31
	v_readfirstlane_b32 s38, v3
	s_cselect_b32 s37, -1, 0
	s_cmp_ge_u32 s38, s30
	s_cselect_b32 s38, -1, 0
	s_cmp_eq_u32 s35, s31
	s_cselect_b32 s35, s38, s37
	s_cmp_lg_u32 s35, 0
	s_cselect_b32 s1, s1, s29
	s_cselect_b32 s0, s0, s34
	s_cbranch_execnz .LBB0_9
.LBB0_8:                                ;   in Loop: Header=BB0_6 Depth=1
	v_cvt_f32_u32_e32 v3, s30
	s_sub_i32 s0, 0, s30
	v_rcp_iflag_f32_e32 v3, v3
	v_mul_f32_e32 v3, 0x4f7ffffe, v3
	v_cvt_u32_f32_e32 v3, v3
	v_readfirstlane_b32 s1, v3
	s_mul_i32 s0, s0, s1
	s_mul_hi_u32 s0, s1, s0
	s_add_i32 s1, s1, s0
	s_mul_hi_u32 s0, s24, s1
	s_mul_i32 s29, s0, s30
	s_sub_i32 s29, s24, s29
	s_add_i32 s1, s0, 1
	s_sub_i32 s34, s29, s30
	s_cmp_ge_u32 s29, s30
	s_cselect_b32 s0, s1, s0
	s_cselect_b32 s29, s34, s29
	s_add_i32 s1, s0, 1
	s_cmp_ge_u32 s29, s30
	s_cselect_b32 s0, s1, s0
	s_mov_b32 s1, s28
.LBB0_9:                                ;   in Loop: Header=BB0_6 Depth=1
	s_mul_i32 s23, s30, s23
	s_mul_hi_u32 s29, s30, s22
	s_add_i32 s23, s29, s23
	s_mul_i32 s29, s31, s22
	s_add_i32 s23, s23, s29
	s_mul_i32 s29, s0, s31
	s_mul_hi_u32 s31, s0, s30
	s_load_dwordx2 s[34:35], s[4:5], 0x0
	s_add_i32 s29, s31, s29
	s_mul_i32 s31, s1, s30
	s_mul_i32 s22, s30, s22
	s_add_i32 s29, s29, s31
	s_mul_i32 s30, s0, s30
	s_sub_u32 s24, s24, s30
	s_subb_u32 s25, s25, s29
	s_waitcnt lgkmcnt(0)
	s_mul_i32 s25, s34, s25
	s_mul_hi_u32 s29, s34, s24
	s_add_i32 s25, s29, s25
	s_mul_i32 s29, s35, s24
	s_add_i32 s25, s25, s29
	s_mul_i32 s24, s34, s24
	s_add_u32 s19, s24, s19
	s_addc_u32 s33, s25, s33
	s_add_u32 s26, s26, 1
	s_addc_u32 s27, s27, 0
	;; [unrolled: 2-line block ×3, first 2 shown]
	v_cmp_ge_u64_e32 vcc, s[26:27], v[1:2]
	s_add_u32 s12, s12, 8
	s_addc_u32 s13, s13, 0
	s_cbranch_vccnz .LBB0_13
; %bb.10:                               ;   in Loop: Header=BB0_6 Depth=1
	s_mov_b64 s[24:25], s[0:1]
	s_branch .LBB0_6
.LBB0_11:                               ;   in Loop: Header=BB0_6 Depth=1
                                        ; implicit-def: $sgpr0_sgpr1
	s_branch .LBB0_8
.LBB0_12:
	v_mov_b32_e32 v1, s24
	v_mov_b32_e32 v2, s25
	s_branch .LBB0_15
.LBB0_13:
	v_mov_b32_e32 v1, s22
	v_mov_b32_e32 v2, s23
	v_cmp_lt_u64_e32 vcc, s[6:7], v[1:2]
	v_mov_b32_e32 v1, 0
	v_mov_b32_e32 v2, 0
	s_cbranch_vccnz .LBB0_15
; %bb.14:
	v_cvt_f32_u32_e32 v1, s22
	s_sub_i32 s0, 0, s22
	v_rcp_iflag_f32_e32 v1, v1
	v_mul_f32_e32 v1, 0x4f7ffffe, v1
	v_cvt_u32_f32_e32 v1, v1
	v_mul_lo_u32 v2, s0, v1
	v_mul_hi_u32 v2, v1, v2
	v_add_u32_e32 v1, v1, v2
	v_mul_hi_u32 v1, s6, v1
	v_mul_lo_u32 v2, v1, s22
	v_add_u32_e32 v3, 1, v1
	v_sub_u32_e32 v2, s6, v2
	v_subrev_u32_e32 v4, s22, v2
	v_cmp_le_u32_e32 vcc, s22, v2
	v_cndmask_b32_e32 v2, v2, v4, vcc
	v_cndmask_b32_e32 v1, v1, v3, vcc
	v_add_u32_e32 v3, 1, v1
	v_cmp_le_u32_e32 vcc, s22, v2
	v_cndmask_b32_e32 v1, v1, v3, vcc
.LBB0_15:
	s_lshl_b64 s[0:1], s[10:11], 3
	s_add_u32 s0, s14, s0
	s_addc_u32 s1, s15, s1
	s_load_dword s0, s[0:1], 0x0
	s_mov_b32 s33, 0x1745d175
	v_mul_hi_u32 v60, v0, s33
	v_mov_b32_e32 v2, s17
	s_mov_b32 s11, 0x20000
	s_waitcnt lgkmcnt(0)
	v_mul_lo_u32 v1, s0, v1
	v_mul_u32_u24_e32 v3, 11, v60
	v_sub_u32_e32 v61, v0, v3
	v_add_co_u32_e32 v33, vcc, s36, v61
	v_add_u32_e32 v3, s19, v1
	v_addc_co_u32_e32 v34, vcc, 0, v2, vcc
	s_add_u32 s0, s36, 11
	v_mul_lo_u32 v85, s18, v61
	v_mul_lo_u32 v4, s16, v60
	v_mov_b32_e32 v1, s2
	s_addc_u32 s1, s17, 0
	v_mov_b32_e32 v2, s3
	v_cmp_le_u64_e32 vcc, s[0:1], v[1:2]
	v_cmp_gt_u64_e64 s[0:1], s[2:3], v[33:34]
	v_add_lshl_u32 v1, v85, v4, 4
	s_or_b64 vcc, vcc, s[0:1]
	v_cndmask_b32_e32 v5, -1, v1, vcc
	v_add_u32_e32 v1, 11, v60
	v_mul_lo_u32 v1, s16, v1
	v_lshlrev_b32_e32 v2, 4, v3
	s_mov_b32 s10, -2
	v_readfirstlane_b32 s17, v2
	v_add_lshl_u32 v1, v85, v1, 4
	v_cndmask_b32_e32 v6, -1, v1, vcc
	v_add_u32_e32 v1, 22, v60
	v_mul_lo_u32 v7, s16, v1
	s_nop 0
	buffer_load_dwordx4 v[29:32], v5, s[8:11], s17 offen
	buffer_load_dwordx4 v[1:4], v6, s[8:11], s17 offen
	v_add_u32_e32 v9, 0x42, v60
	v_mul_lo_u32 v9, s16, v9
	v_add_lshl_u32 v5, v85, v7, 4
	v_cndmask_b32_e32 v5, -1, v5, vcc
	buffer_load_dwordx4 v[34:37], v5, s[8:11], s17 offen
	v_add_u32_e32 v6, 33, v60
	v_add_u32_e32 v7, 0x6e, v60
	v_mul_lo_u32 v6, s16, v6
	v_mul_lo_u32 v7, s16, v7
	v_add_lshl_u32 v9, v85, v9, 4
	v_cndmask_b32_e32 v9, -1, v9, vcc
	buffer_load_dwordx4 v[9:12], v9, s[8:11], s17 offen
	v_add_lshl_u32 v5, v85, v6, 4
	v_add_lshl_u32 v6, v85, v7, 4
	v_cndmask_b32_e32 v6, -1, v6, vcc
	v_cndmask_b32_e32 v5, -1, v5, vcc
	buffer_load_dwordx4 v[38:41], v6, s[8:11], s17 offen
	buffer_load_dwordx4 v[21:24], v5, s[8:11], s17 offen
	v_add_u32_e32 v5, 44, v60
	v_mul_lo_u32 v5, s16, v5
	v_add_u32_e32 v17, 0x4d, v60
	v_mul_lo_u32 v17, s16, v17
	v_add_u32_e32 v25, 0x58, v60
	v_add_lshl_u32 v5, v85, v5, 4
	v_cndmask_b32_e32 v5, -1, v5, vcc
	v_add_lshl_u32 v17, v85, v17, 4
	buffer_load_dwordx4 v[13:16], v5, s[8:11], s17 offen
	v_cndmask_b32_e32 v17, -1, v17, vcc
	buffer_load_dwordx4 v[17:20], v17, s[8:11], s17 offen
	v_add_u32_e32 v5, 55, v60
	v_mul_lo_u32 v5, s16, v5
	v_mul_lo_u32 v25, s16, v25
	v_add_u32_e32 v42, 0x63, v60
	v_mul_lo_u32 v42, s16, v42
	v_add_lshl_u32 v5, v85, v5, 4
	v_cndmask_b32_e32 v5, -1, v5, vcc
	buffer_load_dwordx4 v[5:8], v5, s[8:11], s17 offen
	v_add_lshl_u32 v25, v85, v25, 4
	v_cndmask_b32_e32 v25, -1, v25, vcc
	buffer_load_dwordx4 v[25:28], v25, s[8:11], s17 offen
	;; [unrolled: 3-line block ×3, first 2 shown]
	s_mov_b32 s22, 0xf8bb580b
	s_mov_b32 s23, 0xbfe14ced
	;; [unrolled: 1-line block ×30, first 2 shown]
	s_waitcnt vmcnt(9)
	v_add_f64 v[46:47], v[29:30], v[1:2]
	v_add_f64 v[48:49], v[31:32], v[3:4]
	s_waitcnt vmcnt(8)
	v_add_f64 v[46:47], v[46:47], v[34:35]
	v_add_f64 v[48:49], v[48:49], v[36:37]
	s_waitcnt vmcnt(6)
	v_add_f64 v[50:51], v[3:4], -v[40:41]
	v_add_f64 v[52:53], v[3:4], v[40:41]
	s_waitcnt vmcnt(5)
	v_add_f64 v[3:4], v[46:47], v[21:22]
	v_add_f64 v[46:47], v[48:49], v[23:24]
	;; [unrolled: 1-line block ×3, first 2 shown]
	v_add_f64 v[54:55], v[1:2], -v[38:39]
	v_mul_f64 v[1:2], v[50:51], s[22:23]
	v_mul_f64 v[68:69], v[50:51], s[18:19]
	s_waitcnt vmcnt(4)
	v_add_f64 v[3:4], v[3:4], v[13:14]
	v_add_f64 v[46:47], v[46:47], v[15:16]
	v_mul_f64 v[64:65], v[50:51], s[0:1]
	v_mul_f64 v[66:67], v[52:53], s[2:3]
	;; [unrolled: 1-line block ×4, first 2 shown]
	v_fma_f64 v[72:73], v[48:49], s[24:25], v[1:2]
	v_fma_f64 v[1:2], v[48:49], s[24:25], -v[1:2]
	v_fma_f64 v[86:87], v[48:49], s[28:29], v[68:69]
	v_fma_f64 v[68:69], v[48:49], s[28:29], -v[68:69]
	s_waitcnt vmcnt(2)
	v_add_f64 v[3:4], v[3:4], v[5:6]
	v_add_f64 v[46:47], v[46:47], v[7:8]
	v_mul_f64 v[58:59], v[50:51], s[12:13]
	v_fma_f64 v[80:81], v[48:49], s[2:3], v[64:65]
	v_fma_f64 v[82:83], v[54:55], s[14:15], v[66:67]
	v_add_f64 v[90:91], v[29:30], v[1:2]
	v_fma_f64 v[88:89], v[54:55], s[30:31], v[70:71]
	v_fma_f64 v[70:71], v[54:55], s[18:19], v[70:71]
	v_add_f64 v[3:4], v[3:4], v[9:10]
	v_add_f64 v[46:47], v[46:47], v[11:12]
	v_mul_f64 v[62:63], v[52:53], s[6:7]
	v_fma_f64 v[74:75], v[54:55], s[26:27], v[56:57]
	v_fma_f64 v[76:77], v[48:49], s[6:7], v[58:59]
	v_fma_f64 v[58:59], v[48:49], s[6:7], -v[58:59]
	v_fma_f64 v[64:65], v[48:49], s[2:3], -v[64:65]
	v_fma_f64 v[56:57], v[54:55], s[22:23], v[56:57]
	v_add_f64 v[3:4], v[3:4], v[17:18]
	v_add_f64 v[46:47], v[46:47], v[19:20]
	v_fma_f64 v[78:79], v[54:55], s[4:5], v[62:63]
	v_fma_f64 v[62:63], v[54:55], s[12:13], v[62:63]
	;; [unrolled: 1-line block ×3, first 2 shown]
	v_add_f64 v[72:73], v[29:30], v[72:73]
	v_add_f64 v[74:75], v[31:32], v[74:75]
	;; [unrolled: 1-line block ×3, first 2 shown]
	s_waitcnt vmcnt(1)
	v_add_f64 v[3:4], v[3:4], v[25:26]
	v_add_f64 v[46:47], v[46:47], v[27:28]
	;; [unrolled: 1-line block ×8, first 2 shown]
	s_waitcnt vmcnt(0)
	v_add_f64 v[1:2], v[3:4], v[42:43]
	v_add_f64 v[3:4], v[46:47], v[44:45]
	v_add_f64 v[46:47], v[29:30], v[80:81]
	v_add_f64 v[80:81], v[31:32], v[82:83]
	v_add_f64 v[82:83], v[29:30], v[86:87]
	v_add_f64 v[86:87], v[31:32], v[88:89]
	v_add_f64 v[88:89], v[34:35], v[42:43]
	v_add_f64 v[34:35], v[34:35], -v[42:43]
	v_add_f64 v[1:2], v[1:2], v[38:39]
	v_add_f64 v[3:4], v[3:4], v[40:41]
	v_mul_f64 v[38:39], v[50:51], s[34:35]
	v_mul_f64 v[40:41], v[52:53], s[36:37]
	v_add_f64 v[50:51], v[29:30], v[68:69]
	v_add_f64 v[68:69], v[36:37], -v[44:45]
	v_add_f64 v[36:37], v[36:37], v[44:45]
	v_add_f64 v[52:53], v[31:32], v[70:71]
	v_fma_f64 v[44:45], v[48:49], s[36:37], v[38:39]
	v_fma_f64 v[70:71], v[54:55], s[38:39], v[40:41]
	v_fma_f64 v[38:39], v[48:49], s[36:37], -v[38:39]
	v_mul_f64 v[42:43], v[68:69], s[12:13]
	v_mul_f64 v[92:93], v[36:37], s[6:7]
	v_fma_f64 v[40:41], v[54:55], s[34:35], v[40:41]
	v_mul_f64 v[54:55], v[68:69], s[18:19]
	v_add_f64 v[44:45], v[29:30], v[44:45]
	v_add_f64 v[48:49], v[31:32], v[70:71]
	v_mul_f64 v[70:71], v[36:37], s[28:29]
	v_add_f64 v[29:30], v[29:30], v[38:39]
	v_fma_f64 v[96:97], v[34:35], s[4:5], v[92:93]
	v_fma_f64 v[38:39], v[88:89], s[6:7], -v[42:43]
	v_fma_f64 v[94:95], v[88:89], s[6:7], v[42:43]
	v_add_f64 v[31:32], v[31:32], v[40:41]
	v_fma_f64 v[40:41], v[34:35], s[12:13], v[92:93]
	v_fma_f64 v[42:43], v[88:89], s[28:29], v[54:55]
	;; [unrolled: 1-line block ×3, first 2 shown]
	v_fma_f64 v[54:55], v[88:89], s[28:29], -v[54:55]
	v_add_f64 v[74:75], v[96:97], v[74:75]
	v_mul_f64 v[96:97], v[36:37], s[36:37]
	v_add_f64 v[38:39], v[38:39], v[90:91]
	v_fma_f64 v[70:71], v[34:35], s[18:19], v[70:71]
	v_mul_f64 v[90:91], v[68:69], s[14:15]
	v_add_f64 v[72:73], v[94:95], v[72:73]
	v_mul_f64 v[94:95], v[68:69], s[38:39]
	v_add_f64 v[40:41], v[40:41], v[56:57]
	v_add_f64 v[56:57], v[92:93], v[78:79]
	v_fma_f64 v[78:79], v[34:35], s[34:35], v[96:97]
	v_mul_f64 v[92:93], v[36:37], s[2:3]
	v_add_f64 v[54:55], v[54:55], v[58:59]
	v_add_f64 v[58:59], v[70:71], v[62:63]
	v_fma_f64 v[70:71], v[88:89], s[2:3], v[90:91]
	v_add_f64 v[42:43], v[42:43], v[76:77]
	v_fma_f64 v[76:77], v[88:89], s[36:37], v[94:95]
	v_mul_f64 v[68:69], v[68:69], s[26:27]
	v_add_f64 v[62:63], v[78:79], v[80:81]
	v_fma_f64 v[78:79], v[88:89], s[2:3], -v[90:91]
	v_fma_f64 v[80:81], v[34:35], s[14:15], v[92:93]
	v_mul_f64 v[36:37], v[36:37], s[24:25]
	v_add_f64 v[70:71], v[70:71], v[82:83]
	v_add_f64 v[82:83], v[23:24], -v[27:28]
	v_add_f64 v[46:47], v[76:77], v[46:47]
	v_fma_f64 v[76:77], v[34:35], s[0:1], v[92:93]
	v_add_f64 v[23:24], v[23:24], v[27:28]
	v_add_f64 v[27:28], v[78:79], v[50:51]
	;; [unrolled: 1-line block ×3, first 2 shown]
	v_fma_f64 v[50:51], v[88:89], s[24:25], v[68:69]
	v_fma_f64 v[78:79], v[34:35], s[22:23], v[36:37]
	v_add_f64 v[80:81], v[21:22], v[25:26]
	v_add_f64 v[21:22], v[21:22], -v[25:26]
	v_mul_f64 v[25:26], v[82:83], s[0:1]
	v_add_f64 v[76:77], v[76:77], v[86:87]
	v_mul_f64 v[86:87], v[23:24], s[2:3]
	v_fma_f64 v[96:97], v[34:35], s[38:39], v[96:97]
	v_fma_f64 v[68:69], v[88:89], s[24:25], -v[68:69]
	v_fma_f64 v[34:35], v[34:35], s[26:27], v[36:37]
	v_add_f64 v[36:37], v[50:51], v[44:45]
	v_add_f64 v[44:45], v[78:79], v[48:49]
	v_mul_f64 v[48:49], v[82:83], s[38:39]
	v_fma_f64 v[78:79], v[80:81], s[2:3], v[25:26]
	v_fma_f64 v[94:95], v[88:89], s[36:37], -v[94:95]
	v_mul_f64 v[50:51], v[23:24], s[36:37]
	v_fma_f64 v[88:89], v[21:22], s[14:15], v[86:87]
	v_add_f64 v[29:30], v[68:69], v[29:30]
	v_add_f64 v[31:32], v[34:35], v[31:32]
	v_fma_f64 v[25:26], v[80:81], s[2:3], -v[25:26]
	v_fma_f64 v[68:69], v[80:81], s[36:37], v[48:49]
	v_add_f64 v[72:73], v[78:79], v[72:73]
	v_mul_f64 v[78:79], v[82:83], s[4:5]
	v_fma_f64 v[34:35], v[21:22], s[0:1], v[86:87]
	v_fma_f64 v[86:87], v[21:22], s[34:35], v[50:51]
	v_add_f64 v[74:75], v[88:89], v[74:75]
	v_mul_f64 v[88:89], v[23:24], s[6:7]
	v_add_f64 v[64:65], v[94:95], v[64:65]
	v_add_f64 v[68:69], v[68:69], v[42:43]
	;; [unrolled: 1-line block ×3, first 2 shown]
	v_fma_f64 v[42:43], v[80:81], s[6:7], v[78:79]
	v_fma_f64 v[38:39], v[80:81], s[36:37], -v[48:49]
	v_add_f64 v[86:87], v[86:87], v[56:57]
	v_mul_f64 v[56:57], v[23:24], s[24:25]
	v_fma_f64 v[48:49], v[21:22], s[12:13], v[88:89]
	v_fma_f64 v[78:79], v[80:81], s[6:7], -v[78:79]
	v_mul_f64 v[23:24], v[23:24], s[28:29]
	v_add_f64 v[34:35], v[34:35], v[40:41]
	v_fma_f64 v[40:41], v[21:22], s[38:39], v[50:51]
	v_mul_f64 v[50:51], v[82:83], s[22:23]
	v_add_f64 v[92:93], v[42:43], v[46:47]
	v_mul_f64 v[42:43], v[82:83], s[18:19]
	v_add_f64 v[62:63], v[48:49], v[62:63]
	v_add_f64 v[64:65], v[78:79], v[64:65]
	v_fma_f64 v[48:49], v[21:22], s[22:23], v[56:57]
	v_add_f64 v[78:79], v[15:16], -v[19:20]
	v_add_f64 v[82:83], v[15:16], v[19:20]
	v_fma_f64 v[19:20], v[21:22], s[30:31], v[23:24]
	v_fma_f64 v[46:47], v[80:81], s[24:25], -v[50:51]
	v_fma_f64 v[15:16], v[80:81], s[28:29], v[42:43]
	v_add_f64 v[90:91], v[38:39], v[54:55]
	v_add_f64 v[58:59], v[40:41], v[58:59]
	v_fma_f64 v[40:41], v[21:22], s[26:27], v[56:57]
	v_add_f64 v[52:53], v[48:49], v[52:53]
	v_add_f64 v[54:55], v[13:14], v[17:18]
	v_add_f64 v[56:57], v[13:14], -v[17:18]
	v_mul_f64 v[13:14], v[78:79], s[18:19]
	v_mul_f64 v[17:18], v[82:83], s[28:29]
	v_add_f64 v[48:49], v[19:20], v[44:45]
	v_fma_f64 v[19:20], v[21:22], s[18:19], v[23:24]
	v_mul_f64 v[23:24], v[82:83], s[2:3]
	v_fma_f64 v[88:89], v[21:22], s[4:5], v[88:89]
	v_fma_f64 v[38:39], v[80:81], s[24:25], v[50:51]
	v_add_f64 v[50:51], v[46:47], v[27:28]
	v_add_f64 v[46:47], v[15:16], v[36:37]
	v_fma_f64 v[15:16], v[80:81], s[28:29], -v[42:43]
	v_mul_f64 v[21:22], v[78:79], s[14:15]
	v_add_f64 v[76:77], v[40:41], v[76:77]
	v_fma_f64 v[27:28], v[54:55], s[28:29], v[13:14]
	v_fma_f64 v[36:37], v[56:57], s[30:31], v[17:18]
	;; [unrolled: 1-line block ×3, first 2 shown]
	v_add_f64 v[40:41], v[19:20], v[31:32]
	v_fma_f64 v[19:20], v[56:57], s[0:1], v[23:24]
	v_add_f64 v[70:71], v[38:39], v[70:71]
	v_fma_f64 v[13:14], v[54:55], s[28:29], -v[13:14]
	v_add_f64 v[38:39], v[15:16], v[29:30]
	v_fma_f64 v[15:16], v[54:55], s[2:3], v[21:22]
	v_add_f64 v[42:43], v[27:28], v[72:73]
	v_add_f64 v[27:28], v[17:18], v[34:35]
	v_mul_f64 v[17:18], v[82:83], s[24:25]
	v_add_f64 v[31:32], v[19:20], v[86:87]
	v_fma_f64 v[19:20], v[56:57], s[14:15], v[23:24]
	v_add_f64 v[66:67], v[96:97], v[66:67]
	v_add_f64 v[25:26], v[13:14], v[25:26]
	v_mul_f64 v[13:14], v[78:79], s[22:23]
	v_add_f64 v[29:30], v[15:16], v[68:69]
	v_mul_f64 v[68:69], v[78:79], s[34:35]
	v_add_f64 v[44:45], v[36:37], v[74:75]
	v_fma_f64 v[23:24], v[56:57], s[26:27], v[17:18]
	v_add_f64 v[36:37], v[19:20], v[58:59]
	v_add_f64 v[58:59], v[7:8], -v[11:12]
	v_add_f64 v[66:67], v[88:89], v[66:67]
	v_mul_f64 v[72:73], v[82:83], s[36:37]
	v_fma_f64 v[15:16], v[54:55], s[2:3], -v[21:22]
	v_fma_f64 v[21:22], v[54:55], s[24:25], v[13:14]
	v_fma_f64 v[13:14], v[54:55], s[24:25], -v[13:14]
	v_fma_f64 v[74:75], v[56:57], s[22:23], v[17:18]
	v_fma_f64 v[80:81], v[54:55], s[36:37], v[68:69]
	v_add_f64 v[11:12], v[7:8], v[11:12]
	v_add_f64 v[23:24], v[23:24], v[62:63]
	v_mul_f64 v[62:63], v[78:79], s[4:5]
	v_add_f64 v[7:8], v[5:6], v[9:10]
	v_add_f64 v[5:6], v[5:6], -v[9:10]
	v_mul_f64 v[9:10], v[58:59], s[34:35]
	v_add_f64 v[17:18], v[13:14], v[64:65]
	v_add_f64 v[19:20], v[74:75], v[66:67]
	;; [unrolled: 1-line block ×3, first 2 shown]
	v_mul_f64 v[64:65], v[82:83], s[6:7]
	v_fma_f64 v[66:67], v[54:55], s[36:37], -v[68:69]
	v_fma_f64 v[68:69], v[56:57], s[34:35], v[72:73]
	v_mul_f64 v[70:71], v[11:12], s[36:37]
	v_fma_f64 v[86:87], v[56:57], s[38:39], v[72:73]
	v_fma_f64 v[72:73], v[54:55], s[6:7], v[62:63]
	v_fma_f64 v[54:55], v[54:55], s[6:7], -v[62:63]
	v_fma_f64 v[62:63], v[7:8], s[36:37], v[9:10]
	v_fma_f64 v[74:75], v[56:57], s[12:13], v[64:65]
	v_add_f64 v[50:51], v[66:67], v[50:51]
	v_add_f64 v[52:53], v[68:69], v[52:53]
	v_fma_f64 v[56:57], v[56:57], s[4:5], v[64:65]
	v_fma_f64 v[64:65], v[5:6], s[38:39], v[70:71]
	v_mul_f64 v[66:67], v[58:59], s[26:27]
	v_mul_f64 v[68:69], v[11:12], s[24:25]
	v_add_f64 v[54:55], v[54:55], v[38:39]
	v_add_f64 v[38:39], v[62:63], v[42:43]
	v_fma_f64 v[42:43], v[5:6], s[34:35], v[70:71]
	v_mul_f64 v[70:71], v[11:12], s[28:29]
	v_add_f64 v[34:35], v[15:16], v[90:91]
	v_add_f64 v[56:57], v[56:57], v[40:41]
	;; [unrolled: 1-line block ×3, first 2 shown]
	v_fma_f64 v[9:10], v[7:8], s[36:37], -v[9:10]
	v_fma_f64 v[44:45], v[7:8], s[24:25], v[66:67]
	v_fma_f64 v[62:63], v[5:6], s[22:23], v[68:69]
	v_mul_f64 v[64:65], v[58:59], s[18:19]
	v_fma_f64 v[66:67], v[7:8], s[24:25], -v[66:67]
	v_add_f64 v[27:28], v[42:43], v[27:28]
	v_fma_f64 v[42:43], v[5:6], s[30:31], v[70:71]
	v_add_f64 v[21:22], v[21:22], v[92:93]
	v_add_f64 v[25:26], v[9:10], v[25:26]
	;; [unrolled: 1-line block ×4, first 2 shown]
	v_fma_f64 v[9:10], v[7:8], s[28:29], v[64:65]
	v_add_f64 v[34:35], v[66:67], v[34:35]
	v_fma_f64 v[44:45], v[7:8], s[28:29], -v[64:65]
	v_fma_f64 v[62:63], v[5:6], s[18:19], v[70:71]
	v_mul_f64 v[64:65], v[58:59], s[4:5]
	v_mul_f64 v[66:67], v[11:12], s[6:7]
	v_add_f64 v[23:24], v[42:43], v[23:24]
	v_mul_f64 v[42:43], v[58:59], s[0:1]
	v_mul_f64 v[58:59], v[11:12], s[2:3]
	v_add_f64 v[15:16], v[86:87], v[76:77]
	v_add_f64 v[21:22], v[9:10], v[21:22]
	;; [unrolled: 1-line block ×4, first 2 shown]
	v_fma_f64 v[17:18], v[7:8], s[6:7], v[64:65]
	v_fma_f64 v[19:20], v[5:6], s[12:13], v[66:67]
	v_add_f64 v[46:47], v[72:73], v[46:47]
	v_add_f64 v[48:49], v[74:75], v[48:49]
	v_fma_f64 v[44:45], v[7:8], s[6:7], -v[64:65]
	v_fma_f64 v[62:63], v[5:6], s[4:5], v[66:67]
	v_fma_f64 v[64:65], v[7:8], s[2:3], v[42:43]
	;; [unrolled: 1-line block ×3, first 2 shown]
	v_fma_f64 v[42:43], v[7:8], s[2:3], -v[42:43]
	v_fma_f64 v[58:59], v[5:6], s[0:1], v[58:59]
	v_fma_f64 v[68:69], v[5:6], s[26:27], v[68:69]
	v_add_f64 v[5:6], v[17:18], v[13:14]
	v_add_f64 v[7:8], v[19:20], v[15:16]
	;; [unrolled: 1-line block ×7, first 2 shown]
	v_mul_u32_u24_e32 v46, 0x790, v60
	v_lshlrev_b32_e32 v47, 4, v61
	v_add_f64 v[15:16], v[62:63], v[52:53]
	v_add3_u32 v46, 0, v46, v47
	v_add_f64 v[36:37], v[68:69], v[36:37]
	ds_write_b128 v46, v[1:4]
	ds_write_b128 v46, v[38:41] offset:176
	ds_write_b128 v46, v[29:32] offset:352
	;; [unrolled: 1-line block ×10, first 2 shown]
	v_mul_hi_u32 v1, v60, s33
	s_waitcnt lgkmcnt(0)
	s_barrier
	v_mul_u32_u24_e32 v1, 11, v1
	v_sub_u32_e32 v86, v60, v1
	v_mul_u32_u24_e32 v1, 10, v86
	v_lshlrev_b32_e32 v42, 4, v1
	global_load_dwordx4 v[1:4], v42, s[20:21]
	global_load_dwordx4 v[5:8], v42, s[20:21] offset:16
	global_load_dwordx4 v[9:12], v42, s[20:21] offset:32
	;; [unrolled: 1-line block ×9, first 2 shown]
	s_movk_i32 s20, 0xf920
	v_mad_i32_i24 v72, v60, s20, v46
	ds_read_b128 v[42:45], v72 offset:1936
	ds_read_b128 v[46:49], v72 offset:3872
	;; [unrolled: 1-line block ×3, first 2 shown]
	s_waitcnt vmcnt(9) lgkmcnt(2)
	v_mul_f64 v[54:55], v[44:45], v[3:4]
	v_mul_f64 v[3:4], v[42:43], v[3:4]
	s_waitcnt vmcnt(8) lgkmcnt(1)
	v_mul_f64 v[56:57], v[48:49], v[7:8]
	v_mul_f64 v[7:8], v[46:47], v[7:8]
	v_fma_f64 v[54:55], v[42:43], v[1:2], v[54:55]
	v_fma_f64 v[58:59], v[44:45], v[1:2], -v[3:4]
	ds_read_b128 v[42:45], v72
	v_fma_f64 v[46:47], v[46:47], v[5:6], v[56:57]
	v_fma_f64 v[48:49], v[48:49], v[5:6], -v[7:8]
	s_waitcnt vmcnt(7) lgkmcnt(1)
	v_mul_f64 v[56:57], v[52:53], v[11:12]
	v_mul_f64 v[11:12], v[50:51], v[11:12]
	ds_read_b128 v[1:4], v72 offset:7744
	ds_read_b128 v[5:8], v72 offset:9680
	s_waitcnt lgkmcnt(2)
	v_add_f64 v[60:61], v[42:43], v[54:55]
	v_add_f64 v[62:63], v[44:45], v[58:59]
	s_waitcnt vmcnt(6) lgkmcnt(1)
	v_mul_f64 v[64:65], v[3:4], v[15:16]
	v_fma_f64 v[50:51], v[50:51], v[9:10], v[56:57]
	v_fma_f64 v[52:53], v[52:53], v[9:10], -v[11:12]
	v_mul_f64 v[9:10], v[1:2], v[15:16]
	v_add_f64 v[11:12], v[60:61], v[46:47]
	v_add_f64 v[15:16], v[62:63], v[48:49]
	s_waitcnt vmcnt(5) lgkmcnt(0)
	v_mul_f64 v[60:61], v[7:8], v[19:20]
	v_fma_f64 v[56:57], v[1:2], v[13:14], v[64:65]
	v_mul_f64 v[19:20], v[5:6], v[19:20]
	v_fma_f64 v[62:63], v[3:4], v[13:14], -v[9:10]
	v_add_f64 v[13:14], v[11:12], v[50:51]
	v_add_f64 v[15:16], v[15:16], v[52:53]
	ds_read_b128 v[1:4], v72 offset:11616
	ds_read_b128 v[9:12], v72 offset:13552
	v_fma_f64 v[60:61], v[5:6], v[17:18], v[60:61]
	v_fma_f64 v[64:65], v[7:8], v[17:18], -v[19:20]
	s_waitcnt vmcnt(4) lgkmcnt(1)
	v_mul_f64 v[66:67], v[3:4], v[23:24]
	v_mul_f64 v[23:24], v[1:2], v[23:24]
	v_add_f64 v[68:69], v[13:14], v[56:57]
	v_add_f64 v[70:71], v[15:16], v[62:63]
	ds_read_b128 v[5:8], v72 offset:15488
	ds_read_b128 v[13:16], v72 offset:17424
	;; [unrolled: 1-line block ×3, first 2 shown]
	s_waitcnt vmcnt(3) lgkmcnt(3)
	v_mul_f64 v[72:73], v[11:12], v[27:28]
	v_mul_f64 v[27:28], v[9:10], v[27:28]
	v_fma_f64 v[1:2], v[1:2], v[21:22], v[66:67]
	s_waitcnt vmcnt(2) lgkmcnt(2)
	v_mul_f64 v[66:67], v[7:8], v[31:32]
	v_fma_f64 v[21:22], v[3:4], v[21:22], -v[23:24]
	v_add_f64 v[3:4], v[68:69], v[60:61]
	v_add_f64 v[23:24], v[70:71], v[64:65]
	v_fma_f64 v[9:10], v[9:10], v[25:26], v[72:73]
	v_fma_f64 v[11:12], v[11:12], v[25:26], -v[27:28]
	s_waitcnt vmcnt(1) lgkmcnt(0)
	v_mul_f64 v[25:26], v[17:18], v[36:37]
	v_mul_f64 v[27:28], v[5:6], v[31:32]
	v_fma_f64 v[31:32], v[5:6], v[29:30], v[66:67]
	s_waitcnt vmcnt(0)
	v_mul_f64 v[5:6], v[15:16], v[40:41]
	v_mul_f64 v[36:37], v[19:20], v[36:37]
	v_add_f64 v[3:4], v[3:4], v[1:2]
	v_add_f64 v[23:24], v[23:24], v[21:22]
	v_mul_f64 v[40:41], v[13:14], v[40:41]
	v_fma_f64 v[19:20], v[19:20], v[34:35], -v[25:26]
	v_fma_f64 v[7:8], v[7:8], v[29:30], -v[27:28]
	v_fma_f64 v[13:14], v[13:14], v[38:39], v[5:6]
	v_fma_f64 v[5:6], v[17:18], v[34:35], v[36:37]
	v_add_f64 v[3:4], v[3:4], v[9:10]
	v_add_f64 v[23:24], v[23:24], v[11:12]
	v_fma_f64 v[15:16], v[15:16], v[38:39], -v[40:41]
	v_add_f64 v[17:18], v[58:59], -v[19:20]
	v_add_f64 v[25:26], v[58:59], v[19:20]
	v_add_f64 v[89:90], v[46:47], v[13:14]
	;; [unrolled: 1-line block ×3, first 2 shown]
	v_add_f64 v[29:30], v[54:55], -v[5:6]
	v_add_f64 v[3:4], v[3:4], v[31:32]
	v_add_f64 v[23:24], v[23:24], v[7:8]
	v_mul_f64 v[74:75], v[17:18], s[18:19]
	v_mul_f64 v[76:77], v[25:26], s[28:29]
	;; [unrolled: 1-line block ×6, first 2 shown]
	v_add_f64 v[82:83], v[48:49], -v[15:16]
	v_mul_f64 v[36:37], v[25:26], s[24:25]
	v_fma_f64 v[78:79], v[27:28], s[28:29], v[74:75]
	v_fma_f64 v[80:81], v[29:30], s[30:31], v[76:77]
	v_fma_f64 v[74:75], v[27:28], s[28:29], -v[74:75]
	v_fma_f64 v[76:77], v[29:30], s[18:19], v[76:77]
	v_add_f64 v[3:4], v[3:4], v[13:14]
	v_add_f64 v[23:24], v[23:24], v[15:16]
	v_mul_f64 v[40:41], v[25:26], s[6:7]
	v_fma_f64 v[54:55], v[27:28], s[24:25], v[34:35]
	v_mul_f64 v[68:69], v[25:26], s[2:3]
	v_mul_f64 v[25:26], v[25:26], s[36:37]
	v_add_f64 v[15:16], v[48:49], v[15:16]
	v_add_f64 v[48:49], v[42:43], v[74:75]
	;; [unrolled: 1-line block ×3, first 2 shown]
	v_fma_f64 v[76:77], v[27:28], s[36:37], v[17:18]
	v_add_f64 v[13:14], v[46:47], -v[13:14]
	v_mul_f64 v[46:47], v[82:83], s[12:13]
	v_fma_f64 v[58:59], v[29:30], s[26:27], v[36:37]
	v_add_f64 v[5:6], v[3:4], v[5:6]
	v_add_f64 v[3:4], v[23:24], v[19:20]
	v_fma_f64 v[19:20], v[27:28], s[24:25], -v[34:35]
	v_fma_f64 v[23:24], v[29:30], s[22:23], v[36:37]
	v_fma_f64 v[34:35], v[27:28], s[6:7], v[38:39]
	;; [unrolled: 1-line block ×3, first 2 shown]
	v_add_f64 v[54:55], v[42:43], v[54:55]
	v_fma_f64 v[38:39], v[27:28], s[6:7], -v[38:39]
	v_fma_f64 v[40:41], v[29:30], s[12:13], v[40:41]
	v_fma_f64 v[70:71], v[27:28], s[2:3], v[66:67]
	;; [unrolled: 1-line block ×3, first 2 shown]
	v_fma_f64 v[66:67], v[27:28], s[2:3], -v[66:67]
	v_fma_f64 v[68:69], v[29:30], s[0:1], v[68:69]
	v_fma_f64 v[87:88], v[29:30], s[38:39], v[25:26]
	v_mul_f64 v[91:92], v[15:16], s[6:7]
	v_fma_f64 v[17:18], v[27:28], s[36:37], -v[17:18]
	v_fma_f64 v[25:26], v[29:30], s[34:35], v[25:26]
	v_add_f64 v[27:28], v[42:43], v[76:77]
	v_mul_f64 v[76:77], v[82:83], s[18:19]
	v_fma_f64 v[93:94], v[89:90], s[6:7], v[46:47]
	v_add_f64 v[58:59], v[44:45], v[58:59]
	v_add_f64 v[19:20], v[42:43], v[19:20]
	;; [unrolled: 1-line block ×14, first 2 shown]
	v_mul_f64 v[87:88], v[15:16], s[28:29]
	v_fma_f64 v[95:96], v[13:14], s[4:5], v[91:92]
	v_add_f64 v[17:18], v[42:43], v[17:18]
	v_add_f64 v[25:26], v[44:45], v[25:26]
	v_fma_f64 v[42:43], v[89:90], s[6:7], -v[46:47]
	v_fma_f64 v[44:45], v[13:14], s[12:13], v[91:92]
	v_fma_f64 v[46:47], v[89:90], s[28:29], v[76:77]
	v_add_f64 v[54:55], v[93:94], v[54:55]
	v_mul_f64 v[93:94], v[82:83], s[38:39]
	v_fma_f64 v[91:92], v[13:14], s[30:31], v[87:88]
	v_add_f64 v[58:59], v[95:96], v[58:59]
	v_mul_f64 v[95:96], v[15:16], s[36:37]
	v_add_f64 v[19:20], v[42:43], v[19:20]
	v_add_f64 v[23:24], v[44:45], v[23:24]
	;; [unrolled: 1-line block ×3, first 2 shown]
	v_fma_f64 v[42:43], v[89:90], s[28:29], -v[76:77]
	v_fma_f64 v[44:45], v[13:14], s[18:19], v[87:88]
	v_fma_f64 v[46:47], v[89:90], s[36:37], v[93:94]
	v_mul_f64 v[87:88], v[82:83], s[14:15]
	v_add_f64 v[36:37], v[91:92], v[36:37]
	v_fma_f64 v[76:77], v[13:14], s[34:35], v[95:96]
	v_mul_f64 v[91:92], v[15:16], s[2:3]
	v_mul_f64 v[82:83], v[82:83], s[26:27]
	v_add_f64 v[38:39], v[42:43], v[38:39]
	v_add_f64 v[40:41], v[44:45], v[40:41]
	;; [unrolled: 1-line block ×3, first 2 shown]
	v_fma_f64 v[46:47], v[89:90], s[2:3], v[87:88]
	v_mul_f64 v[15:16], v[15:16], s[24:25]
	v_add_f64 v[44:45], v[76:77], v[72:73]
	v_fma_f64 v[70:71], v[13:14], s[0:1], v[91:92]
	v_fma_f64 v[72:73], v[89:90], s[2:3], -v[87:88]
	v_fma_f64 v[76:77], v[13:14], s[14:15], v[91:92]
	v_fma_f64 v[95:96], v[13:14], s[38:39], v[95:96]
	v_fma_f64 v[93:94], v[89:90], s[36:37], -v[93:94]
	v_add_f64 v[46:47], v[46:47], v[78:79]
	v_add_f64 v[78:79], v[52:53], -v[7:8]
	v_add_f64 v[7:8], v[52:53], v[7:8]
	v_add_f64 v[70:71], v[70:71], v[80:81]
	;; [unrolled: 1-line block ×4, first 2 shown]
	v_fma_f64 v[72:73], v[89:90], s[24:25], v[82:83]
	v_fma_f64 v[74:75], v[13:14], s[22:23], v[15:16]
	v_add_f64 v[76:77], v[50:51], v[31:32]
	v_add_f64 v[31:32], v[50:51], -v[31:32]
	v_mul_f64 v[50:51], v[78:79], s[0:1]
	v_mul_f64 v[80:81], v[7:8], s[2:3]
	v_fma_f64 v[82:83], v[89:90], s[24:25], -v[82:83]
	v_fma_f64 v[13:14], v[13:14], s[26:27], v[15:16]
	v_add_f64 v[15:16], v[72:73], v[27:28]
	v_add_f64 v[27:28], v[74:75], v[29:30]
	v_mul_f64 v[29:30], v[78:79], s[38:39]
	v_mul_f64 v[72:73], v[7:8], s[36:37]
	v_fma_f64 v[74:75], v[76:77], s[2:3], v[50:51]
	v_fma_f64 v[87:88], v[31:32], s[14:15], v[80:81]
	v_add_f64 v[17:18], v[82:83], v[17:18]
	v_add_f64 v[13:14], v[13:14], v[25:26]
	v_fma_f64 v[25:26], v[76:77], s[2:3], -v[50:51]
	v_fma_f64 v[50:51], v[31:32], s[0:1], v[80:81]
	v_fma_f64 v[80:81], v[76:77], s[36:37], v[29:30]
	;; [unrolled: 1-line block ×3, first 2 shown]
	v_add_f64 v[54:55], v[74:75], v[54:55]
	v_add_f64 v[58:59], v[87:88], v[58:59]
	v_mul_f64 v[74:75], v[78:79], s[4:5]
	v_mul_f64 v[87:88], v[7:8], s[6:7]
	v_add_f64 v[66:67], v[93:94], v[66:67]
	v_add_f64 v[68:69], v[95:96], v[68:69]
	;; [unrolled: 1-line block ×6, first 2 shown]
	v_fma_f64 v[29:30], v[76:77], s[36:37], -v[29:30]
	v_fma_f64 v[36:37], v[31:32], s[38:39], v[72:73]
	v_fma_f64 v[50:51], v[76:77], s[6:7], v[74:75]
	v_fma_f64 v[72:73], v[31:32], s[12:13], v[87:88]
	v_mul_f64 v[80:81], v[78:79], s[22:23]
	v_fma_f64 v[74:75], v[76:77], s[6:7], -v[74:75]
	v_fma_f64 v[87:88], v[31:32], s[4:5], v[87:88]
	v_mul_f64 v[82:83], v[7:8], s[24:25]
	v_add_f64 v[29:30], v[29:30], v[38:39]
	v_add_f64 v[36:37], v[36:37], v[40:41]
	;; [unrolled: 1-line block ×4, first 2 shown]
	v_fma_f64 v[42:43], v[76:77], s[24:25], v[80:81]
	v_add_f64 v[50:51], v[74:75], v[66:67]
	v_add_f64 v[66:67], v[87:88], v[68:69]
	v_mul_f64 v[68:69], v[78:79], s[18:19]
	v_fma_f64 v[44:45], v[31:32], s[26:27], v[82:83]
	v_mul_f64 v[7:8], v[7:8], s[28:29]
	v_fma_f64 v[72:73], v[76:77], s[24:25], -v[80:81]
	v_fma_f64 v[74:75], v[31:32], s[22:23], v[82:83]
	v_add_f64 v[42:43], v[42:43], v[46:47]
	v_add_f64 v[46:47], v[62:63], -v[11:12]
	v_add_f64 v[11:12], v[62:63], v[11:12]
	v_fma_f64 v[62:63], v[76:77], s[28:29], v[68:69]
	v_add_f64 v[44:45], v[44:45], v[70:71]
	v_fma_f64 v[70:71], v[31:32], s[30:31], v[7:8]
	v_add_f64 v[48:49], v[72:73], v[48:49]
	v_add_f64 v[52:53], v[74:75], v[52:53]
	v_add_f64 v[72:73], v[56:57], v[9:10]
	v_add_f64 v[9:10], v[56:57], -v[9:10]
	v_mul_f64 v[56:57], v[46:47], s[18:19]
	v_mul_f64 v[74:75], v[11:12], s[28:29]
	v_add_f64 v[15:16], v[62:63], v[15:16]
	v_fma_f64 v[62:63], v[76:77], s[28:29], -v[68:69]
	v_add_f64 v[68:69], v[70:71], v[27:28]
	v_fma_f64 v[7:8], v[31:32], s[18:19], v[7:8]
	v_mul_f64 v[27:28], v[46:47], s[14:15]
	v_mul_f64 v[31:32], v[11:12], s[2:3]
	v_fma_f64 v[70:71], v[72:73], s[28:29], v[56:57]
	v_fma_f64 v[56:57], v[72:73], s[28:29], -v[56:57]
	v_fma_f64 v[76:77], v[9:10], s[30:31], v[74:75]
	v_add_f64 v[17:18], v[62:63], v[17:18]
	v_fma_f64 v[62:63], v[9:10], s[18:19], v[74:75]
	v_add_f64 v[7:8], v[7:8], v[13:14]
	v_fma_f64 v[13:14], v[72:73], s[2:3], v[27:28]
	v_fma_f64 v[74:75], v[9:10], s[0:1], v[31:32]
	v_add_f64 v[54:55], v[70:71], v[54:55]
	v_add_f64 v[56:57], v[56:57], v[19:20]
	v_mul_f64 v[19:20], v[46:47], s[22:23]
	v_add_f64 v[58:59], v[76:77], v[58:59]
	v_add_f64 v[70:71], v[62:63], v[23:24]
	v_mul_f64 v[23:24], v[11:12], s[24:25]
	v_add_f64 v[13:14], v[13:14], v[25:26]
	v_fma_f64 v[25:26], v[72:73], s[2:3], -v[27:28]
	v_mul_f64 v[27:28], v[46:47], s[34:35]
	v_add_f64 v[74:75], v[74:75], v[34:35]
	v_fma_f64 v[31:32], v[9:10], s[14:15], v[31:32]
	v_fma_f64 v[34:35], v[72:73], s[24:25], v[19:20]
	v_mul_f64 v[62:63], v[11:12], s[36:37]
	v_fma_f64 v[76:77], v[9:10], s[26:27], v[23:24]
	v_fma_f64 v[19:20], v[72:73], s[24:25], -v[19:20]
	v_add_f64 v[78:79], v[25:26], v[29:30]
	v_fma_f64 v[25:26], v[72:73], s[36:37], v[27:28]
	v_fma_f64 v[23:24], v[9:10], s[22:23], v[23:24]
	v_add_f64 v[80:81], v[31:32], v[36:37]
	v_add_f64 v[82:83], v[34:35], v[38:39]
	v_fma_f64 v[29:30], v[9:10], s[38:39], v[62:63]
	v_add_f64 v[76:77], v[76:77], v[40:41]
	v_add_f64 v[40:41], v[64:65], -v[21:22]
	v_add_f64 v[34:35], v[19:20], v[50:51]
	v_mul_f64 v[19:20], v[46:47], s[4:5]
	v_add_f64 v[36:37], v[25:26], v[42:43]
	v_mul_f64 v[11:12], v[11:12], s[6:7]
	v_add_f64 v[42:43], v[64:65], v[21:22]
	v_add_f64 v[21:22], v[60:61], v[1:2]
	;; [unrolled: 1-line block ×3, first 2 shown]
	v_mul_f64 v[46:47], v[40:41], s[34:35]
	v_add_f64 v[38:39], v[29:30], v[44:45]
	v_fma_f64 v[25:26], v[72:73], s[36:37], -v[27:28]
	v_fma_f64 v[27:28], v[9:10], s[34:35], v[62:63]
	v_fma_f64 v[29:30], v[72:73], s[6:7], v[19:20]
	;; [unrolled: 1-line block ×3, first 2 shown]
	v_add_f64 v[23:24], v[60:61], -v[1:2]
	v_mul_f64 v[60:61], v[42:43], s[36:37]
	v_fma_f64 v[9:10], v[9:10], s[4:5], v[11:12]
	v_fma_f64 v[11:12], v[21:22], s[36:37], v[46:47]
	v_fma_f64 v[1:2], v[72:73], s[6:7], -v[19:20]
	v_add_f64 v[44:45], v[25:26], v[48:49]
	v_add_f64 v[25:26], v[27:28], v[52:53]
	;; [unrolled: 1-line block ×3, first 2 shown]
	v_mul_f64 v[48:49], v[42:43], s[24:25]
	v_fma_f64 v[15:16], v[23:24], s[38:39], v[60:61]
	v_add_f64 v[19:20], v[9:10], v[7:8]
	v_mul_f64 v[9:10], v[40:41], s[26:27]
	v_add_f64 v[7:8], v[11:12], v[54:55]
	v_fma_f64 v[11:12], v[21:22], s[36:37], -v[46:47]
	v_fma_f64 v[46:47], v[23:24], s[34:35], v[60:61]
	v_mul_f64 v[61:62], v[42:43], s[28:29]
	v_add_f64 v[29:30], v[50:51], v[68:69]
	v_mul_f64 v[50:51], v[40:41], s[18:19]
	v_add_f64 v[1:2], v[1:2], v[17:18]
	v_add_f64 v[17:18], v[15:16], v[58:59]
	v_fma_f64 v[58:59], v[23:24], s[22:23], v[48:49]
	v_fma_f64 v[63:64], v[21:22], s[24:25], -v[9:10]
	v_fma_f64 v[15:16], v[21:22], s[24:25], v[9:10]
	v_add_f64 v[53:54], v[11:12], v[56:57]
	v_add_f64 v[55:56], v[46:47], v[70:71]
	v_fma_f64 v[69:70], v[23:24], s[30:31], v[61:62]
	v_mul_f64 v[46:47], v[42:43], s[6:7]
	v_fma_f64 v[67:68], v[21:22], s[28:29], v[50:51]
	v_mul_lo_u32 v52, v86, v33
	v_fma_f64 v[50:51], v[21:22], s[28:29], -v[50:51]
	v_add_f64 v[11:12], v[58:59], v[74:75]
	v_add_f64 v[57:58], v[63:64], v[78:79]
	v_and_b32_e32 v63, 31, v52
	v_lshrrev_b32_e32 v64, 1, v52
	v_add_f64 v[9:10], v[15:16], v[13:14]
	v_add_f64 v[15:16], v[69:70], v[76:77]
	v_fma_f64 v[75:76], v[23:24], s[12:13], v[46:47]
	v_lshl_add_u32 v63, v63, 4, 0
	v_and_b32_e32 v64, 0x1f0, v64
	s_add_i32 s12, 0, 0x5330
	v_add_f64 v[13:14], v[67:68], v[82:83]
	v_add_u32_e32 v64, s12, v64
	ds_read_b128 v[67:70], v63 offset:21296
	ds_read_b128 v[71:74], v64 offset:512
	v_fma_f64 v[65:66], v[23:24], s[26:27], v[48:49]
	v_mul_f64 v[48:49], v[40:41], s[4:5]
	v_add_f64 v[63:64], v[50:51], v[34:35]
	v_mul_f64 v[50:51], v[40:41], s[0:1]
	s_waitcnt lgkmcnt(0)
	v_mul_f64 v[40:41], v[69:70], v[73:74]
	v_fma_f64 v[61:62], v[23:24], s[18:19], v[61:62]
	v_mul_f64 v[73:74], v[67:68], v[73:74]
	v_add_f64 v[59:60], v[65:66], v[80:81]
	v_fma_f64 v[65:66], v[21:22], s[6:7], v[48:49]
	v_fma_f64 v[48:49], v[21:22], s[6:7], -v[48:49]
	v_mul_f64 v[81:82], v[42:43], s[2:3]
	v_fma_f64 v[89:90], v[67:68], v[71:72], -v[40:41]
	v_mul_lo_u32 v41, v33, 11
	v_lshrrev_b32_e32 v33, 6, v52
	v_and_b32_e32 v33, 0x1f0, v33
	v_add_u32_e32 v33, s12, v33
	v_add_u32_e32 v40, v52, v41
	v_add_f64 v[34:35], v[65:66], v[36:37]
	v_and_b32_e32 v36, 31, v40
	v_lshl_add_u32 v42, v36, 4, 0
	v_add_f64 v[61:62], v[61:62], v[31:32]
	v_add_f64 v[31:32], v[75:76], v[38:39]
	;; [unrolled: 1-line block ×3, first 2 shown]
	ds_read_b128 v[36:39], v33 offset:1024
	ds_read_b128 v[42:45], v42 offset:21296
	v_lshrrev_b32_e32 v33, 1, v40
	v_and_b32_e32 v33, 0x1f0, v33
	v_add_u32_e32 v33, s12, v33
	v_fma_f64 v[75:76], v[23:24], s[4:5], v[46:47]
	ds_read_b128 v[46:49], v33 offset:512
	v_fma_f64 v[83:84], v[21:22], s[2:3], v[50:51]
	v_fma_f64 v[87:88], v[23:24], s[14:15], v[81:82]
	v_lshrrev_b32_e32 v33, 6, v40
	v_and_b32_e32 v33, 0x1f0, v33
	s_waitcnt lgkmcnt(0)
	v_mul_f64 v[91:92], v[44:45], v[48:49]
	v_add_u32_e32 v33, s12, v33
	ds_read_b128 v[77:80], v33 offset:1024
	v_fma_f64 v[69:70], v[69:70], v[71:72], v[73:74]
	v_add_u32_e32 v33, v40, v41
	v_add_f64 v[67:68], v[75:76], v[25:26]
	v_add_f64 v[25:26], v[83:84], v[27:28]
	;; [unrolled: 1-line block ×3, first 2 shown]
	v_fma_f64 v[29:30], v[21:22], s[2:3], -v[50:51]
	v_mul_f64 v[71:72], v[89:90], v[38:39]
	v_fma_f64 v[73:74], v[42:43], v[46:47], -v[91:92]
	v_mul_f64 v[42:43], v[42:43], v[48:49]
	v_lshrrev_b32_e32 v22, 1, v33
	v_and_b32_e32 v21, 31, v33
	v_and_b32_e32 v22, 0x1f0, v22
	v_lshl_add_u32 v21, v21, 4, 0
	v_add_u32_e32 v22, s12, v22
	v_fma_f64 v[81:82], v[23:24], s[0:1], v[81:82]
	ds_read_b128 v[48:51], v21 offset:21296
	ds_read_b128 v[21:24], v22 offset:512
	v_mul_f64 v[38:39], v[69:70], v[38:39]
	v_fma_f64 v[69:70], v[36:37], v[69:70], v[71:72]
	v_fma_f64 v[42:43], v[44:45], v[46:47], v[42:43]
	s_waitcnt lgkmcnt(2)
	v_mul_f64 v[44:45], v[73:74], v[79:80]
	s_waitcnt lgkmcnt(0)
	v_mul_f64 v[46:47], v[50:51], v[23:24]
	v_mul_f64 v[71:72], v[48:49], v[23:24]
	v_add_f64 v[23:24], v[81:82], v[19:20]
	v_lshrrev_b32_e32 v19, 6, v33
	v_add_u32_e32 v33, v33, v41
	v_lshrrev_b32_e32 v40, 1, v33
	v_and_b32_e32 v19, 0x1f0, v19
	v_and_b32_e32 v20, 31, v33
	;; [unrolled: 1-line block ×3, first 2 shown]
	v_add_f64 v[75:76], v[29:30], v[1:2]
	v_fma_f64 v[29:30], v[36:37], v[89:90], -v[38:39]
	v_add_u32_e32 v19, s12, v19
	v_lshl_add_u32 v36, v20, 4, 0
	v_add_u32_e32 v40, s12, v40
	v_mul_f64 v[79:80], v[42:43], v[79:80]
	v_fma_f64 v[81:82], v[77:78], v[42:43], v[44:45]
	v_fma_f64 v[83:84], v[48:49], v[21:22], -v[46:47]
	v_fma_f64 v[50:51], v[50:51], v[21:22], v[71:72]
	ds_read_b128 v[19:22], v19 offset:1024
	ds_read_b128 v[36:39], v36 offset:21296
	;; [unrolled: 1-line block ×3, first 2 shown]
	v_mul_f64 v[1:2], v[3:4], v[69:70]
	v_lshrrev_b32_e32 v40, 6, v33
	v_and_b32_e32 v40, 0x1f0, v40
	v_add_u32_e32 v40, s12, v40
	s_waitcnt lgkmcnt(0)
	v_mul_f64 v[71:72], v[38:39], v[44:45]
	v_add_u32_e32 v33, v33, v41
	ds_read_b128 v[46:49], v40 offset:1024
	v_and_b32_e32 v40, 31, v33
	v_fma_f64 v[1:2], v[5:6], v[29:30], v[1:2]
	v_mul_f64 v[5:6], v[5:6], v[69:70]
	v_lshl_add_u32 v40, v40, 4, 0
	v_fma_f64 v[73:74], v[77:78], v[73:74], -v[79:80]
	v_fma_f64 v[91:92], v[36:37], v[42:43], -v[71:72]
	v_mul_f64 v[36:37], v[36:37], v[44:45]
	v_lshrrev_b32_e32 v44, 1, v33
	v_and_b32_e32 v44, 0x1f0, v44
	v_add_u32_e32 v44, s12, v44
	ds_read_b128 v[69:72], v40 offset:21296
	ds_read_b128 v[77:80], v44 offset:512
	v_mul_f64 v[87:88], v[17:18], v[81:82]
	v_mul_f64 v[81:82], v[7:8], v[81:82]
	;; [unrolled: 1-line block ×4, first 2 shown]
	v_fma_f64 v[3:4], v[3:4], v[29:30], -v[5:6]
	v_fma_f64 v[29:30], v[38:39], v[42:43], v[36:37]
	s_waitcnt lgkmcnt(2)
	v_mul_f64 v[36:37], v[91:92], v[48:49]
	s_waitcnt lgkmcnt(0)
	v_mul_f64 v[38:39], v[71:72], v[79:80]
	v_fma_f64 v[5:6], v[7:8], v[73:74], v[87:88]
	v_fma_f64 v[7:8], v[17:18], v[73:74], -v[81:82]
	v_lshrrev_b32_e32 v17, 6, v33
	v_add_u32_e32 v33, v33, v41
	v_fma_f64 v[21:22], v[19:20], v[50:51], v[21:22]
	v_lshrrev_b32_e32 v40, 1, v33
	v_and_b32_e32 v17, 0x1f0, v17
	v_and_b32_e32 v18, 31, v33
	;; [unrolled: 1-line block ×3, first 2 shown]
	v_fma_f64 v[73:74], v[19:20], v[83:84], -v[89:90]
	v_mul_f64 v[83:84], v[29:30], v[48:49]
	v_fma_f64 v[29:30], v[46:47], v[29:30], v[36:37]
	v_add_u32_e32 v17, s12, v17
	v_lshl_add_u32 v36, v18, 4, 0
	v_add_u32_e32 v40, s12, v40
	v_fma_f64 v[87:88], v[69:70], v[77:78], -v[38:39]
	ds_read_b128 v[17:20], v17 offset:1024
	ds_read_b128 v[36:39], v36 offset:21296
	;; [unrolled: 1-line block ×3, first 2 shown]
	v_mul_f64 v[69:70], v[69:70], v[79:80]
	v_mul_f64 v[81:82], v[11:12], v[21:22]
	;; [unrolled: 1-line block ×3, first 2 shown]
	v_lshrrev_b32_e32 v40, 6, v33
	s_waitcnt lgkmcnt(0)
	v_mul_f64 v[79:80], v[38:39], v[44:45]
	v_and_b32_e32 v40, 0x1f0, v40
	v_add_u32_e32 v40, s12, v40
	v_add_u32_e32 v33, v33, v41
	v_fma_f64 v[77:78], v[71:72], v[77:78], v[69:70]
	ds_read_b128 v[48:51], v40 offset:1024
	v_fma_f64 v[11:12], v[11:12], v[73:74], -v[21:22]
	v_fma_f64 v[21:22], v[46:47], v[91:92], -v[83:84]
	v_fma_f64 v[83:84], v[36:37], v[42:43], -v[79:80]
	v_mul_f64 v[36:37], v[36:37], v[44:45]
	v_and_b32_e32 v40, 31, v33
	v_lshrrev_b32_e32 v44, 1, v33
	v_lshl_add_u32 v40, v40, 4, 0
	v_and_b32_e32 v44, 0x1f0, v44
	v_add_u32_e32 v52, s12, v44
	ds_read_b128 v[44:47], v40 offset:21296
	ds_read_b128 v[69:72], v52 offset:512
	v_fma_f64 v[9:10], v[9:10], v[73:74], v[81:82]
	v_mul_f64 v[73:74], v[15:16], v[29:30]
	v_mul_f64 v[29:30], v[13:14], v[29:30]
	;; [unrolled: 1-line block ×4, first 2 shown]
	v_fma_f64 v[36:37], v[38:39], v[42:43], v[36:37]
	s_waitcnt lgkmcnt(2)
	v_mul_f64 v[38:39], v[83:84], v[50:51]
	s_waitcnt lgkmcnt(0)
	v_mul_f64 v[42:43], v[46:47], v[71:72]
	v_mul_f64 v[71:72], v[44:45], v[71:72]
	v_fma_f64 v[13:14], v[13:14], v[21:22], v[73:74]
	v_fma_f64 v[15:16], v[15:16], v[21:22], -v[29:30]
	v_fma_f64 v[81:82], v[17:18], v[77:78], v[81:82]
	v_fma_f64 v[29:30], v[17:18], v[87:88], -v[19:20]
	v_lshrrev_b32_e32 v19, 6, v33
	v_add_u32_e32 v33, v33, v41
	v_lshrrev_b32_e32 v40, 1, v33
	v_mul_f64 v[50:51], v[36:37], v[50:51]
	v_fma_f64 v[73:74], v[48:49], v[36:37], v[38:39]
	v_and_b32_e32 v19, 0x1f0, v19
	v_and_b32_e32 v36, 31, v33
	;; [unrolled: 1-line block ×3, first 2 shown]
	v_add_u32_e32 v19, s12, v19
	v_lshl_add_u32 v36, v36, 4, 0
	v_add_u32_e32 v40, s12, v40
	v_fma_f64 v[87:88], v[44:45], v[69:70], -v[42:43]
	ds_read_b128 v[19:22], v19 offset:1024
	ds_read_b128 v[36:39], v36 offset:21296
	;; [unrolled: 1-line block ×3, first 2 shown]
	v_fma_f64 v[46:47], v[46:47], v[69:70], v[71:72]
	v_mul_f64 v[17:18], v[31:32], v[81:82]
	v_lshrrev_b32_e32 v40, 6, v33
	v_add_u32_e32 v52, v33, v41
	s_waitcnt lgkmcnt(0)
	v_mul_f64 v[71:72], v[38:39], v[44:45]
	v_mul_f64 v[69:70], v[87:88], v[21:22]
	v_and_b32_e32 v40, 0x1f0, v40
	v_mul_f64 v[81:82], v[34:35], v[81:82]
	v_and_b32_e32 v33, 31, v52
	v_fma_f64 v[17:18], v[34:35], v[29:30], v[17:18]
	v_lshrrev_b32_e32 v34, 1, v52
	v_add_u32_e32 v40, s12, v40
	v_fma_f64 v[89:90], v[36:37], v[42:43], -v[71:72]
	v_mul_f64 v[71:72], v[36:37], v[44:45]
	v_lshl_add_u32 v33, v33, 4, 0
	v_and_b32_e32 v34, 0x1f0, v34
	ds_read_b128 v[77:80], v40 offset:1024
	v_fma_f64 v[48:49], v[48:49], v[83:84], -v[50:51]
	v_mul_f64 v[21:22], v[46:47], v[21:22]
	v_fma_f64 v[83:84], v[19:20], v[46:47], v[69:70]
	v_add_u32_e32 v37, s12, v34
	ds_read_b128 v[33:36], v33 offset:21296
	ds_read_b128 v[44:47], v37 offset:512
	v_fma_f64 v[37:38], v[38:39], v[42:43], v[71:72]
	v_mul_f64 v[50:51], v[27:28], v[73:74]
	v_mul_f64 v[73:74], v[25:26], v[73:74]
	s_waitcnt lgkmcnt(2)
	v_mul_f64 v[39:40], v[89:90], v[79:80]
	s_waitcnt lgkmcnt(0)
	v_mul_f64 v[42:43], v[35:36], v[46:47]
	v_mul_f64 v[46:47], v[33:34], v[46:47]
	v_fma_f64 v[69:70], v[19:20], v[87:88], -v[21:22]
	v_fma_f64 v[19:20], v[31:32], v[29:30], -v[81:82]
	v_mul_f64 v[79:80], v[37:38], v[79:80]
	v_lshrrev_b32_e32 v29, 6, v52
	v_fma_f64 v[27:28], v[27:28], v[48:49], -v[73:74]
	v_fma_f64 v[73:74], v[77:78], v[37:38], v[39:40]
	v_fma_f64 v[71:72], v[33:34], v[44:45], -v[42:43]
	v_add_u32_e32 v42, v52, v41
	v_lshrrev_b32_e32 v37, 1, v42
	v_and_b32_e32 v29, 0x1f0, v29
	v_and_b32_e32 v33, 31, v42
	;; [unrolled: 1-line block ×3, first 2 shown]
	v_add_u32_e32 v29, s12, v29
	v_lshl_add_u32 v33, v33, 4, 0
	v_add_u32_e32 v37, s12, v37
	v_fma_f64 v[91:92], v[35:36], v[44:45], v[46:47]
	ds_read_b128 v[29:32], v29 offset:1024
	ds_read_b128 v[33:36], v33 offset:21296
	;; [unrolled: 1-line block ×3, first 2 shown]
	v_add_u32_e32 v87, v42, v41
	v_lshrrev_b32_e32 v43, 6, v42
	v_and_b32_e32 v41, 31, v87
	v_lshrrev_b32_e32 v42, 1, v87
	v_lshl_add_u32 v41, v41, 4, 0
	v_and_b32_e32 v42, 0x1f0, v42
	v_fma_f64 v[25:26], v[25:26], v[48:49], v[50:51]
	v_add_u32_e32 v42, s12, v42
	ds_read_b128 v[45:48], v41 offset:21296
	ds_read_b128 v[49:52], v42 offset:512
	s_waitcnt lgkmcnt(2)
	v_mul_f64 v[95:96], v[35:36], v[39:40]
	v_mul_f64 v[21:22], v[23:24], v[83:84]
	;; [unrolled: 1-line block ×3, first 2 shown]
	v_and_b32_e32 v41, 0x1f0, v43
	s_waitcnt lgkmcnt(0)
	v_mul_f64 v[97:98], v[47:48], v[51:52]
	v_add_u32_e32 v41, s12, v41
	ds_read_b128 v[41:44], v41 offset:1024
	v_mul_f64 v[93:94], v[71:72], v[31:32]
	v_fma_f64 v[33:34], v[33:34], v[37:38], -v[95:96]
	v_mul_f64 v[81:82], v[75:76], v[83:84]
	v_mul_f64 v[83:84], v[91:92], v[31:32]
	v_fma_f64 v[21:22], v[75:76], v[69:70], v[21:22]
	v_fma_f64 v[31:32], v[45:46], v[49:50], -v[97:98]
	v_mul_f64 v[45:46], v[45:46], v[51:52]
	v_lshrrev_b32_e32 v51, 6, v87
	v_and_b32_e32 v51, 0x1f0, v51
	v_add_u32_e32 v51, s12, v51
	v_fma_f64 v[75:76], v[77:78], v[89:90], -v[79:80]
	ds_read_b128 v[87:90], v51 offset:1024
	v_fma_f64 v[35:36], v[35:36], v[37:38], v[39:40]
	s_waitcnt lgkmcnt(1)
	v_mul_f64 v[37:38], v[33:34], v[43:44]
	v_mul_f64 v[79:80], v[67:68], v[73:74]
	v_fma_f64 v[77:78], v[29:30], v[91:92], v[93:94]
	v_mul_f64 v[39:40], v[65:66], v[73:74]
	v_fma_f64 v[45:46], v[47:48], v[49:50], v[45:46]
	s_waitcnt lgkmcnt(0)
	v_mul_f64 v[47:48], v[31:32], v[89:90]
	v_fma_f64 v[49:50], v[29:30], v[71:72], -v[83:84]
	v_mul_f64 v[43:44], v[35:36], v[43:44]
	v_fma_f64 v[51:52], v[41:42], v[35:36], v[37:38]
	v_fma_f64 v[35:36], v[65:66], v[75:76], v[79:80]
	v_mul_f64 v[29:30], v[61:62], v[77:78]
	v_fma_f64 v[37:38], v[67:68], v[75:76], -v[39:40]
	v_mul_f64 v[65:66], v[45:46], v[89:90]
	v_mul_f64 v[39:40], v[63:64], v[77:78]
	s_mov_b32 s0, 0x21d9eae
	v_fma_f64 v[33:34], v[41:42], v[33:34], -v[43:44]
	v_mul_f64 v[41:42], v[59:60], v[51:52]
	v_mul_f64 v[43:44], v[57:58], v[51:52]
	v_mul_hi_u32 v0, v0, s0
	s_movk_i32 s0, 0x79
	v_fma_f64 v[45:46], v[87:88], v[45:46], v[47:48]
	v_fma_f64 v[29:30], v[63:64], v[49:50], v[29:30]
	v_mad_u32_u24 v0, v0, s0, v86
	v_fma_f64 v[47:48], v[87:88], v[31:32], -v[65:66]
	v_fma_f64 v[31:32], v[61:62], v[49:50], -v[39:40]
	v_mul_lo_u32 v49, s16, v0
	v_fma_f64 v[39:40], v[57:58], v[33:34], v[41:42]
	v_fma_f64 v[41:42], v[59:60], v[33:34], -v[43:44]
	v_add_u32_e32 v34, 11, v0
	v_mul_lo_u32 v34, s16, v34
	v_add_lshl_u32 v33, v85, v49, 4
	v_cndmask_b32_e32 v33, -1, v33, vcc
	buffer_store_dwordx4 v[1:4], v33, s[8:11], s17 offen
	v_add_u32_e32 v1, 22, v0
	v_add_lshl_u32 v2, v85, v34, 4
	v_mul_lo_u32 v1, s16, v1
	v_cndmask_b32_e32 v2, -1, v2, vcc
	buffer_store_dwordx4 v[5:8], v2, s[8:11], s17 offen
	v_add_u32_e32 v2, 33, v0
	v_mul_lo_u32 v2, s16, v2
	v_add_lshl_u32 v1, v85, v1, 4
	v_cndmask_b32_e32 v1, -1, v1, vcc
	buffer_store_dwordx4 v[9:12], v1, s[8:11], s17 offen
	v_add_u32_e32 v1, 44, v0
	v_add_lshl_u32 v2, v85, v2, 4
	v_mul_lo_u32 v1, s16, v1
	v_cndmask_b32_e32 v2, -1, v2, vcc
	buffer_store_dwordx4 v[13:16], v2, s[8:11], s17 offen
	v_add_u32_e32 v2, 55, v0
	v_mul_lo_u32 v2, s16, v2
	v_add_lshl_u32 v1, v85, v1, 4
	v_fma_f64 v[23:24], v[23:24], v[69:70], -v[81:82]
	v_cndmask_b32_e32 v1, -1, v1, vcc
	v_mul_f64 v[51:52], v[55:56], v[45:46]
	v_mul_f64 v[45:46], v[53:54], v[45:46]
	buffer_store_dwordx4 v[17:20], v1, s[8:11], s17 offen
	v_add_u32_e32 v1, 0x42, v0
	v_add_lshl_u32 v2, v85, v2, 4
	v_mul_lo_u32 v1, s16, v1
	v_cndmask_b32_e32 v2, -1, v2, vcc
	buffer_store_dwordx4 v[25:28], v2, s[8:11], s17 offen
	v_add_u32_e32 v2, 0x4d, v0
	v_mul_lo_u32 v2, s16, v2
	v_add_lshl_u32 v1, v85, v1, 4
	v_cndmask_b32_e32 v1, -1, v1, vcc
	buffer_store_dwordx4 v[21:24], v1, s[8:11], s17 offen
	v_add_u32_e32 v1, 0x58, v0
	v_add_lshl_u32 v2, v85, v2, 4
	v_fma_f64 v[43:44], v[53:54], v[47:48], v[51:52]
	v_fma_f64 v[45:46], v[55:56], v[47:48], -v[45:46]
	v_mul_lo_u32 v1, s16, v1
	v_cndmask_b32_e32 v2, -1, v2, vcc
	buffer_store_dwordx4 v[35:38], v2, s[8:11], s17 offen
	v_add_u32_e32 v2, 0x63, v0
	v_add_u32_e32 v0, 0x6e, v0
	v_mul_lo_u32 v2, s16, v2
	v_mul_lo_u32 v0, s16, v0
	v_add_lshl_u32 v1, v85, v1, 4
	v_cndmask_b32_e32 v1, -1, v1, vcc
	buffer_store_dwordx4 v[29:32], v1, s[8:11], s17 offen
	v_add_lshl_u32 v1, v85, v2, 4
	v_add_lshl_u32 v0, v85, v0, 4
	v_cndmask_b32_e32 v1, -1, v1, vcc
	v_cndmask_b32_e32 v0, -1, v0, vcc
	buffer_store_dwordx4 v[39:42], v1, s[8:11], s17 offen
	buffer_store_dwordx4 v[43:46], v0, s[8:11], s17 offen
	s_endpgm
	.section	.rodata,"a",@progbits
	.p2align	6, 0x0
	.amdhsa_kernel fft_rtc_back_len121_factors_11_11_wgs_121_tpt_11_dp_ip_CI_sbcc_twdbase5_3step_dirReg_intrinsicReadWrite
		.amdhsa_group_segment_fixed_size 0
		.amdhsa_private_segment_fixed_size 0
		.amdhsa_kernarg_size 96
		.amdhsa_user_sgpr_count 6
		.amdhsa_user_sgpr_private_segment_buffer 1
		.amdhsa_user_sgpr_dispatch_ptr 0
		.amdhsa_user_sgpr_queue_ptr 0
		.amdhsa_user_sgpr_kernarg_segment_ptr 1
		.amdhsa_user_sgpr_dispatch_id 0
		.amdhsa_user_sgpr_flat_scratch_init 0
		.amdhsa_user_sgpr_private_segment_size 0
		.amdhsa_uses_dynamic_stack 0
		.amdhsa_system_sgpr_private_segment_wavefront_offset 0
		.amdhsa_system_sgpr_workgroup_id_x 1
		.amdhsa_system_sgpr_workgroup_id_y 0
		.amdhsa_system_sgpr_workgroup_id_z 0
		.amdhsa_system_sgpr_workgroup_info 0
		.amdhsa_system_vgpr_workitem_id 0
		.amdhsa_next_free_vgpr 99
		.amdhsa_next_free_sgpr 41
		.amdhsa_reserve_vcc 1
		.amdhsa_reserve_flat_scratch 0
		.amdhsa_float_round_mode_32 0
		.amdhsa_float_round_mode_16_64 0
		.amdhsa_float_denorm_mode_32 3
		.amdhsa_float_denorm_mode_16_64 3
		.amdhsa_dx10_clamp 1
		.amdhsa_ieee_mode 1
		.amdhsa_fp16_overflow 0
		.amdhsa_exception_fp_ieee_invalid_op 0
		.amdhsa_exception_fp_denorm_src 0
		.amdhsa_exception_fp_ieee_div_zero 0
		.amdhsa_exception_fp_ieee_overflow 0
		.amdhsa_exception_fp_ieee_underflow 0
		.amdhsa_exception_fp_ieee_inexact 0
		.amdhsa_exception_int_div_zero 0
	.end_amdhsa_kernel
	.text
.Lfunc_end0:
	.size	fft_rtc_back_len121_factors_11_11_wgs_121_tpt_11_dp_ip_CI_sbcc_twdbase5_3step_dirReg_intrinsicReadWrite, .Lfunc_end0-fft_rtc_back_len121_factors_11_11_wgs_121_tpt_11_dp_ip_CI_sbcc_twdbase5_3step_dirReg_intrinsicReadWrite
                                        ; -- End function
	.section	.AMDGPU.csdata,"",@progbits
; Kernel info:
; codeLenInByte = 9948
; NumSgprs: 45
; NumVgprs: 99
; ScratchSize: 0
; MemoryBound: 0
; FloatMode: 240
; IeeeMode: 1
; LDSByteSize: 0 bytes/workgroup (compile time only)
; SGPRBlocks: 5
; VGPRBlocks: 24
; NumSGPRsForWavesPerEU: 45
; NumVGPRsForWavesPerEU: 99
; Occupancy: 2
; WaveLimiterHint : 0
; COMPUTE_PGM_RSRC2:SCRATCH_EN: 0
; COMPUTE_PGM_RSRC2:USER_SGPR: 6
; COMPUTE_PGM_RSRC2:TRAP_HANDLER: 0
; COMPUTE_PGM_RSRC2:TGID_X_EN: 1
; COMPUTE_PGM_RSRC2:TGID_Y_EN: 0
; COMPUTE_PGM_RSRC2:TGID_Z_EN: 0
; COMPUTE_PGM_RSRC2:TIDIG_COMP_CNT: 0
	.type	__hip_cuid_5182262fedff7d7e,@object ; @__hip_cuid_5182262fedff7d7e
	.section	.bss,"aw",@nobits
	.globl	__hip_cuid_5182262fedff7d7e
__hip_cuid_5182262fedff7d7e:
	.byte	0                               ; 0x0
	.size	__hip_cuid_5182262fedff7d7e, 1

	.ident	"AMD clang version 19.0.0git (https://github.com/RadeonOpenCompute/llvm-project roc-6.4.0 25133 c7fe45cf4b819c5991fe208aaa96edf142730f1d)"
	.section	".note.GNU-stack","",@progbits
	.addrsig
	.addrsig_sym __hip_cuid_5182262fedff7d7e
	.amdgpu_metadata
---
amdhsa.kernels:
  - .args:
      - .actual_access:  read_only
        .address_space:  global
        .offset:         0
        .size:           8
        .value_kind:     global_buffer
      - .address_space:  global
        .offset:         8
        .size:           8
        .value_kind:     global_buffer
      - .offset:         16
        .size:           8
        .value_kind:     by_value
      - .actual_access:  read_only
        .address_space:  global
        .offset:         24
        .size:           8
        .value_kind:     global_buffer
      - .actual_access:  read_only
        .address_space:  global
        .offset:         32
        .size:           8
        .value_kind:     global_buffer
      - .offset:         40
        .size:           8
        .value_kind:     by_value
      - .actual_access:  read_only
        .address_space:  global
        .offset:         48
        .size:           8
        .value_kind:     global_buffer
      - .actual_access:  read_only
        .address_space:  global
        .offset:         56
        .size:           8
        .value_kind:     global_buffer
      - .offset:         64
        .size:           4
        .value_kind:     by_value
      - .actual_access:  read_only
        .address_space:  global
        .offset:         72
        .size:           8
        .value_kind:     global_buffer
      - .actual_access:  read_only
        .address_space:  global
        .offset:         80
        .size:           8
        .value_kind:     global_buffer
      - .address_space:  global
        .offset:         88
        .size:           8
        .value_kind:     global_buffer
    .group_segment_fixed_size: 0
    .kernarg_segment_align: 8
    .kernarg_segment_size: 96
    .language:       OpenCL C
    .language_version:
      - 2
      - 0
    .max_flat_workgroup_size: 121
    .name:           fft_rtc_back_len121_factors_11_11_wgs_121_tpt_11_dp_ip_CI_sbcc_twdbase5_3step_dirReg_intrinsicReadWrite
    .private_segment_fixed_size: 0
    .sgpr_count:     45
    .sgpr_spill_count: 0
    .symbol:         fft_rtc_back_len121_factors_11_11_wgs_121_tpt_11_dp_ip_CI_sbcc_twdbase5_3step_dirReg_intrinsicReadWrite.kd
    .uniform_work_group_size: 1
    .uses_dynamic_stack: false
    .vgpr_count:     99
    .vgpr_spill_count: 0
    .wavefront_size: 64
amdhsa.target:   amdgcn-amd-amdhsa--gfx906
amdhsa.version:
  - 1
  - 2
...

	.end_amdgpu_metadata
